;; amdgpu-corpus repo=ROCm/rocFFT kind=compiled arch=gfx906 opt=O3
	.text
	.amdgcn_target "amdgcn-amd-amdhsa--gfx906"
	.amdhsa_code_object_version 6
	.protected	fft_rtc_back_len288_factors_6_6_4_2_wgs_120_tpt_24_halfLds_sp_op_CI_CI_sbrr_dirReg ; -- Begin function fft_rtc_back_len288_factors_6_6_4_2_wgs_120_tpt_24_halfLds_sp_op_CI_CI_sbrr_dirReg
	.globl	fft_rtc_back_len288_factors_6_6_4_2_wgs_120_tpt_24_halfLds_sp_op_CI_CI_sbrr_dirReg
	.p2align	8
	.type	fft_rtc_back_len288_factors_6_6_4_2_wgs_120_tpt_24_halfLds_sp_op_CI_CI_sbrr_dirReg,@function
fft_rtc_back_len288_factors_6_6_4_2_wgs_120_tpt_24_halfLds_sp_op_CI_CI_sbrr_dirReg: ; @fft_rtc_back_len288_factors_6_6_4_2_wgs_120_tpt_24_halfLds_sp_op_CI_CI_sbrr_dirReg
; %bb.0:
	s_load_dwordx4 s[16:19], s[4:5], 0x18
	s_load_dwordx4 s[12:15], s[4:5], 0x0
	;; [unrolled: 1-line block ×3, first 2 shown]
	v_mul_u32_u24_e32 v1, 0xaab, v0
	v_lshrrev_b32_e32 v1, 16, v1
	v_mad_u64_u32 v[9:10], s[0:1], s6, 5, v[1:2]
	s_waitcnt lgkmcnt(0)
	s_load_dwordx2 s[20:21], s[16:17], 0x0
	s_load_dwordx2 s[2:3], s[18:19], 0x0
	v_mov_b32_e32 v3, 0
	v_cmp_lt_u64_e64 s[0:1], s[14:15], 2
	v_mov_b32_e32 v13, 0
	v_mov_b32_e32 v10, v3
	;; [unrolled: 1-line block ×5, first 2 shown]
	s_and_b64 vcc, exec, s[0:1]
	v_mov_b32_e32 v2, v14
	v_mov_b32_e32 v6, v10
	s_cbranch_vccnz .LBB0_8
; %bb.1:
	s_load_dwordx2 s[0:1], s[4:5], 0x10
	s_add_u32 s6, s18, 8
	s_addc_u32 s7, s19, 0
	s_add_u32 s22, s16, 8
	s_addc_u32 s23, s17, 0
	v_mov_b32_e32 v13, 0
	s_waitcnt lgkmcnt(0)
	s_add_u32 s24, s0, 8
	v_mov_b32_e32 v14, 0
	v_mov_b32_e32 v1, v13
	;; [unrolled: 1-line block ×3, first 2 shown]
	s_addc_u32 s25, s1, 0
	s_mov_b64 s[26:27], 1
	v_mov_b32_e32 v2, v14
	v_mov_b32_e32 v8, v10
.LBB0_2:                                ; =>This Inner Loop Header: Depth=1
	s_load_dwordx2 s[28:29], s[24:25], 0x0
                                        ; implicit-def: $vgpr5_vgpr6
	s_waitcnt lgkmcnt(0)
	v_or_b32_e32 v4, s29, v8
	v_cmp_ne_u64_e32 vcc, 0, v[3:4]
	s_and_saveexec_b64 s[0:1], vcc
	s_xor_b64 s[30:31], exec, s[0:1]
	s_cbranch_execz .LBB0_4
; %bb.3:                                ;   in Loop: Header=BB0_2 Depth=1
	v_cvt_f32_u32_e32 v4, s28
	v_cvt_f32_u32_e32 v5, s29
	s_sub_u32 s0, 0, s28
	s_subb_u32 s1, 0, s29
	v_mac_f32_e32 v4, 0x4f800000, v5
	v_rcp_f32_e32 v4, v4
	v_mul_f32_e32 v4, 0x5f7ffffc, v4
	v_mul_f32_e32 v5, 0x2f800000, v4
	v_trunc_f32_e32 v5, v5
	v_mac_f32_e32 v4, 0xcf800000, v5
	v_cvt_u32_f32_e32 v5, v5
	v_cvt_u32_f32_e32 v4, v4
	v_mul_lo_u32 v6, s0, v5
	v_mul_hi_u32 v10, s0, v4
	v_mul_lo_u32 v12, s1, v4
	v_mul_lo_u32 v11, s0, v4
	v_add_u32_e32 v6, v10, v6
	v_add_u32_e32 v6, v6, v12
	v_mul_hi_u32 v10, v4, v11
	v_mul_lo_u32 v12, v4, v6
	v_mul_hi_u32 v16, v4, v6
	v_mul_hi_u32 v15, v5, v11
	v_mul_lo_u32 v11, v5, v11
	v_mul_hi_u32 v17, v5, v6
	v_add_co_u32_e32 v10, vcc, v10, v12
	v_addc_co_u32_e32 v12, vcc, 0, v16, vcc
	v_mul_lo_u32 v6, v5, v6
	v_add_co_u32_e32 v10, vcc, v10, v11
	v_addc_co_u32_e32 v10, vcc, v12, v15, vcc
	v_addc_co_u32_e32 v11, vcc, 0, v17, vcc
	v_add_co_u32_e32 v6, vcc, v10, v6
	v_addc_co_u32_e32 v10, vcc, 0, v11, vcc
	v_add_co_u32_e32 v4, vcc, v4, v6
	v_addc_co_u32_e32 v5, vcc, v5, v10, vcc
	v_mul_lo_u32 v6, s0, v5
	v_mul_hi_u32 v10, s0, v4
	v_mul_lo_u32 v11, s1, v4
	v_mul_lo_u32 v12, s0, v4
	v_add_u32_e32 v6, v10, v6
	v_add_u32_e32 v6, v6, v11
	v_mul_lo_u32 v15, v4, v6
	v_mul_hi_u32 v16, v4, v12
	v_mul_hi_u32 v17, v4, v6
	;; [unrolled: 1-line block ×3, first 2 shown]
	v_mul_lo_u32 v12, v5, v12
	v_mul_hi_u32 v10, v5, v6
	v_add_co_u32_e32 v15, vcc, v16, v15
	v_addc_co_u32_e32 v16, vcc, 0, v17, vcc
	v_mul_lo_u32 v6, v5, v6
	v_add_co_u32_e32 v12, vcc, v15, v12
	v_addc_co_u32_e32 v11, vcc, v16, v11, vcc
	v_addc_co_u32_e32 v10, vcc, 0, v10, vcc
	v_add_co_u32_e32 v6, vcc, v11, v6
	v_addc_co_u32_e32 v10, vcc, 0, v10, vcc
	v_add_co_u32_e32 v6, vcc, v4, v6
	v_addc_co_u32_e32 v10, vcc, v5, v10, vcc
	v_mad_u64_u32 v[4:5], s[0:1], v7, v10, 0
	v_mul_hi_u32 v11, v7, v6
	v_add_co_u32_e32 v12, vcc, v11, v4
	v_addc_co_u32_e32 v15, vcc, 0, v5, vcc
	v_mad_u64_u32 v[4:5], s[0:1], v8, v6, 0
	v_mad_u64_u32 v[10:11], s[0:1], v8, v10, 0
	v_add_co_u32_e32 v4, vcc, v12, v4
	v_addc_co_u32_e32 v4, vcc, v15, v5, vcc
	v_addc_co_u32_e32 v5, vcc, 0, v11, vcc
	v_add_co_u32_e32 v10, vcc, v4, v10
	v_addc_co_u32_e32 v6, vcc, 0, v5, vcc
	v_mul_lo_u32 v11, s29, v10
	v_mul_lo_u32 v12, s28, v6
	v_mad_u64_u32 v[4:5], s[0:1], s28, v10, 0
	v_add3_u32 v5, v5, v12, v11
	v_sub_u32_e32 v11, v8, v5
	v_mov_b32_e32 v12, s29
	v_sub_co_u32_e32 v4, vcc, v7, v4
	v_subb_co_u32_e64 v11, s[0:1], v11, v12, vcc
	v_subrev_co_u32_e64 v12, s[0:1], s28, v4
	v_subbrev_co_u32_e64 v11, s[0:1], 0, v11, s[0:1]
	v_cmp_le_u32_e64 s[0:1], s29, v11
	v_cndmask_b32_e64 v15, 0, -1, s[0:1]
	v_cmp_le_u32_e64 s[0:1], s28, v12
	v_cndmask_b32_e64 v12, 0, -1, s[0:1]
	v_cmp_eq_u32_e64 s[0:1], s29, v11
	v_cndmask_b32_e64 v11, v15, v12, s[0:1]
	v_add_co_u32_e64 v12, s[0:1], 2, v10
	v_addc_co_u32_e64 v15, s[0:1], 0, v6, s[0:1]
	v_add_co_u32_e64 v16, s[0:1], 1, v10
	v_addc_co_u32_e64 v17, s[0:1], 0, v6, s[0:1]
	v_subb_co_u32_e32 v5, vcc, v8, v5, vcc
	v_cmp_ne_u32_e64 s[0:1], 0, v11
	v_cmp_le_u32_e32 vcc, s29, v5
	v_cndmask_b32_e64 v11, v17, v15, s[0:1]
	v_cndmask_b32_e64 v15, 0, -1, vcc
	v_cmp_le_u32_e32 vcc, s28, v4
	v_cndmask_b32_e64 v4, 0, -1, vcc
	v_cmp_eq_u32_e32 vcc, s29, v5
	v_cndmask_b32_e32 v4, v15, v4, vcc
	v_cmp_ne_u32_e32 vcc, 0, v4
	v_cndmask_b32_e64 v4, v16, v12, s[0:1]
	v_cndmask_b32_e32 v6, v6, v11, vcc
	v_cndmask_b32_e32 v5, v10, v4, vcc
.LBB0_4:                                ;   in Loop: Header=BB0_2 Depth=1
	s_andn2_saveexec_b64 s[0:1], s[30:31]
	s_cbranch_execz .LBB0_6
; %bb.5:                                ;   in Loop: Header=BB0_2 Depth=1
	v_cvt_f32_u32_e32 v4, s28
	s_sub_i32 s30, 0, s28
	v_rcp_iflag_f32_e32 v4, v4
	v_mul_f32_e32 v4, 0x4f7ffffe, v4
	v_cvt_u32_f32_e32 v4, v4
	v_mul_lo_u32 v5, s30, v4
	v_mul_hi_u32 v5, v4, v5
	v_add_u32_e32 v4, v4, v5
	v_mul_hi_u32 v4, v7, v4
	v_mul_lo_u32 v5, v4, s28
	v_add_u32_e32 v6, 1, v4
	v_sub_u32_e32 v5, v7, v5
	v_subrev_u32_e32 v10, s28, v5
	v_cmp_le_u32_e32 vcc, s28, v5
	v_cndmask_b32_e32 v5, v5, v10, vcc
	v_cndmask_b32_e32 v4, v4, v6, vcc
	v_add_u32_e32 v6, 1, v4
	v_cmp_le_u32_e32 vcc, s28, v5
	v_cndmask_b32_e32 v5, v4, v6, vcc
	v_mov_b32_e32 v6, v3
.LBB0_6:                                ;   in Loop: Header=BB0_2 Depth=1
	s_or_b64 exec, exec, s[0:1]
	v_mul_lo_u32 v4, v6, s28
	v_mul_lo_u32 v12, v5, s29
	v_mad_u64_u32 v[10:11], s[0:1], v5, s28, 0
	s_load_dwordx2 s[0:1], s[22:23], 0x0
	s_load_dwordx2 s[28:29], s[6:7], 0x0
	v_add3_u32 v4, v11, v12, v4
	v_sub_co_u32_e32 v7, vcc, v7, v10
	v_subb_co_u32_e32 v4, vcc, v8, v4, vcc
	s_waitcnt lgkmcnt(0)
	v_mul_lo_u32 v8, s0, v4
	v_mul_lo_u32 v10, s1, v7
	v_mad_u64_u32 v[13:14], s[0:1], s0, v7, v[13:14]
	s_add_u32 s26, s26, 1
	s_addc_u32 s27, s27, 0
	s_add_u32 s6, s6, 8
	v_mul_lo_u32 v4, s28, v4
	v_mul_lo_u32 v11, s29, v7
	v_mad_u64_u32 v[1:2], s[0:1], s28, v7, v[1:2]
	v_add3_u32 v14, v10, v14, v8
	s_addc_u32 s7, s7, 0
	v_mov_b32_e32 v7, s14
	s_add_u32 s22, s22, 8
	v_mov_b32_e32 v8, s15
	s_addc_u32 s23, s23, 0
	v_cmp_ge_u64_e32 vcc, s[26:27], v[7:8]
	s_add_u32 s24, s24, 8
	v_add3_u32 v2, v11, v2, v4
	s_addc_u32 s25, s25, 0
	s_cbranch_vccnz .LBB0_8
; %bb.7:                                ;   in Loop: Header=BB0_2 Depth=1
	v_mov_b32_e32 v8, v6
	v_mov_b32_e32 v7, v5
	s_branch .LBB0_2
.LBB0_8:
	s_load_dwordx2 s[0:1], s[4:5], 0x28
	s_lshl_b64 s[14:15], s[14:15], 3
	s_add_u32 s4, s18, s14
	s_addc_u32 s5, s19, s15
                                        ; implicit-def: $vgpr3
                                        ; implicit-def: $vgpr10
                                        ; implicit-def: $vgpr7
                                        ; implicit-def: $vgpr8
                                        ; implicit-def: $vgpr11
                                        ; implicit-def: $vgpr12
	s_waitcnt lgkmcnt(0)
	v_cmp_gt_u64_e32 vcc, s[0:1], v[5:6]
	v_cmp_le_u64_e64 s[0:1], s[0:1], v[5:6]
	s_and_saveexec_b64 s[6:7], s[0:1]
	s_xor_b64 s[0:1], exec, s[6:7]
; %bb.9:
	s_mov_b32 s6, 0xaaaaaab
	v_mul_hi_u32 v3, v0, s6
                                        ; implicit-def: $vgpr13_vgpr14
	v_mul_u32_u24_e32 v3, 24, v3
	v_sub_u32_e32 v3, v0, v3
	v_add_u32_e32 v10, 24, v3
	v_add_u32_e32 v7, 48, v3
	v_or_b32_e32 v8, 0x60, v3
	v_add_u32_e32 v11, 0x48, v3
	v_add_u32_e32 v12, 0x78, v3
                                        ; implicit-def: $vgpr0
; %bb.10:
	s_or_saveexec_b64 s[6:7], s[0:1]
                                        ; implicit-def: $vgpr17
                                        ; implicit-def: $vgpr27
                                        ; implicit-def: $vgpr29
                                        ; implicit-def: $vgpr31
                                        ; implicit-def: $vgpr33
                                        ; implicit-def: $vgpr15
                                        ; implicit-def: $vgpr21
                                        ; implicit-def: $vgpr35
                                        ; implicit-def: $vgpr23
                                        ; implicit-def: $vgpr25
                                        ; implicit-def: $vgpr19
                                        ; implicit-def: $vgpr37
	s_xor_b64 exec, exec, s[6:7]
	s_cbranch_execz .LBB0_12
; %bb.11:
	s_add_u32 s0, s16, s14
	s_addc_u32 s1, s17, s15
	s_mov_b32 s14, 0xaaaaaab
	v_mul_hi_u32 v3, v0, s14
	s_load_dwordx2 s[0:1], s[0:1], 0x0
	v_mul_u32_u24_e32 v3, 24, v3
	v_sub_u32_e32 v3, v0, v3
	s_waitcnt lgkmcnt(0)
	v_mul_lo_u32 v4, s1, v5
	v_mul_lo_u32 v15, s0, v6
	v_mad_u64_u32 v[7:8], s[0:1], s0, v5, 0
	v_mad_u64_u32 v[10:11], s[14:15], s20, v3, 0
	v_add3_u32 v8, v8, v15, v4
	v_lshlrev_b64 v[7:8], 3, v[7:8]
	v_mov_b32_e32 v0, v11
	v_mad_u64_u32 v[11:12], s[0:1], s21, v3, v[0:1]
	v_mov_b32_e32 v0, s9
	v_add_co_u32_e64 v4, s[0:1], s8, v7
	v_add_u32_e32 v7, 48, v3
	v_addc_co_u32_e64 v0, s[0:1], v0, v8, s[0:1]
	v_lshlrev_b64 v[12:13], 3, v[13:14]
	v_mad_u64_u32 v[14:15], s[0:1], s20, v7, 0
	v_add_co_u32_e64 v4, s[0:1], v4, v12
	v_addc_co_u32_e64 v21, s[0:1], v0, v13, s[0:1]
	v_mov_b32_e32 v0, v15
	v_or_b32_e32 v8, 0x60, v3
	v_mad_u64_u32 v[12:13], s[0:1], s21, v7, v[0:1]
	v_mad_u64_u32 v[16:17], s[0:1], s20, v8, 0
	v_lshlrev_b64 v[10:11], 3, v[10:11]
	v_mov_b32_e32 v15, v12
	v_add_co_u32_e64 v38, s[0:1], v4, v10
	v_mov_b32_e32 v0, v17
	v_addc_co_u32_e64 v39, s[0:1], v21, v11, s[0:1]
	v_lshlrev_b64 v[10:11], 3, v[14:15]
	v_mad_u64_u32 v[12:13], s[0:1], s21, v8, v[0:1]
	v_add_u32_e32 v15, 0x90, v3
	v_mad_u64_u32 v[13:14], s[0:1], s20, v15, 0
	v_add_co_u32_e64 v40, s[0:1], v4, v10
	v_mov_b32_e32 v0, v14
	v_addc_co_u32_e64 v41, s[0:1], v21, v11, s[0:1]
	v_mov_b32_e32 v17, v12
	v_mad_u64_u32 v[14:15], s[0:1], s21, v15, v[0:1]
	v_or_b32_e32 v12, 0xc0, v3
	v_lshlrev_b64 v[10:11], 3, v[16:17]
	v_mad_u64_u32 v[15:16], s[0:1], s20, v12, 0
	v_add_co_u32_e64 v42, s[0:1], v4, v10
	v_mov_b32_e32 v0, v16
	v_addc_co_u32_e64 v43, s[0:1], v21, v11, s[0:1]
	v_lshlrev_b64 v[10:11], 3, v[13:14]
	v_mad_u64_u32 v[12:13], s[0:1], s21, v12, v[0:1]
	v_add_u32_e32 v17, 0xf0, v3
	v_mad_u64_u32 v[13:14], s[0:1], s20, v17, 0
	v_add_co_u32_e64 v44, s[0:1], v4, v10
	v_mov_b32_e32 v16, v12
	v_mov_b32_e32 v0, v14
	v_addc_co_u32_e64 v45, s[0:1], v21, v11, s[0:1]
	v_lshlrev_b64 v[11:12], 3, v[15:16]
	v_mad_u64_u32 v[14:15], s[0:1], s21, v17, v[0:1]
	v_add_u32_e32 v10, 24, v3
	v_mad_u64_u32 v[15:16], s[0:1], s20, v10, 0
	v_add_co_u32_e64 v46, s[0:1], v4, v11
	v_mov_b32_e32 v0, v16
	v_addc_co_u32_e64 v47, s[0:1], v21, v12, s[0:1]
	v_mad_u64_u32 v[16:17], s[0:1], s21, v10, v[0:1]
	v_add_u32_e32 v11, 0x48, v3
	v_mad_u64_u32 v[17:18], s[0:1], s20, v11, 0
	v_lshlrev_b64 v[12:13], 3, v[13:14]
	v_add_co_u32_e64 v48, s[0:1], v4, v12
	v_mov_b32_e32 v0, v18
	v_add_u32_e32 v12, 0x78, v3
	v_addc_co_u32_e64 v49, s[0:1], v21, v13, s[0:1]
	v_lshlrev_b64 v[13:14], 3, v[15:16]
	v_mad_u64_u32 v[15:16], s[0:1], s21, v11, v[0:1]
	v_mad_u64_u32 v[19:20], s[0:1], s20, v12, 0
	v_add_co_u32_e64 v50, s[0:1], v4, v13
	v_mov_b32_e32 v18, v15
	v_mov_b32_e32 v0, v20
	v_addc_co_u32_e64 v51, s[0:1], v21, v14, s[0:1]
	v_lshlrev_b64 v[13:14], 3, v[17:18]
	v_mad_u64_u32 v[15:16], s[0:1], s21, v12, v[0:1]
	v_add_u32_e32 v18, 0xa8, v3
	v_mad_u64_u32 v[16:17], s[0:1], s20, v18, 0
	v_add_co_u32_e64 v52, s[0:1], v4, v13
	v_mov_b32_e32 v0, v17
	v_addc_co_u32_e64 v53, s[0:1], v21, v14, s[0:1]
	v_mov_b32_e32 v20, v15
	v_mad_u64_u32 v[17:18], s[0:1], s21, v18, v[0:1]
	v_add_u32_e32 v15, 0xd8, v3
	v_lshlrev_b64 v[13:14], 3, v[19:20]
	v_mad_u64_u32 v[18:19], s[0:1], s20, v15, 0
	v_add_co_u32_e64 v54, s[0:1], v4, v13
	v_mov_b32_e32 v0, v19
	v_addc_co_u32_e64 v55, s[0:1], v21, v14, s[0:1]
	v_lshlrev_b64 v[13:14], 3, v[16:17]
	v_mad_u64_u32 v[15:16], s[0:1], s21, v15, v[0:1]
	v_add_u32_e32 v20, 0x108, v3
	v_mad_u64_u32 v[16:17], s[0:1], s20, v20, 0
	v_add_co_u32_e64 v56, s[0:1], v4, v13
	v_mov_b32_e32 v19, v15
	v_mov_b32_e32 v0, v17
	v_addc_co_u32_e64 v57, s[0:1], v21, v14, s[0:1]
	v_lshlrev_b64 v[13:14], 3, v[18:19]
	v_mad_u64_u32 v[17:18], s[0:1], s21, v20, v[0:1]
	v_add_co_u32_e64 v58, s[0:1], v4, v13
	v_addc_co_u32_e64 v59, s[0:1], v21, v14, s[0:1]
	v_lshlrev_b64 v[13:14], 3, v[16:17]
	v_add_co_u32_e64 v60, s[0:1], v4, v13
	v_addc_co_u32_e64 v61, s[0:1], v21, v14, s[0:1]
	global_load_dwordx2 v[16:17], v[38:39], off
	global_load_dwordx2 v[26:27], v[40:41], off
	;; [unrolled: 1-line block ×12, first 2 shown]
.LBB0_12:
	s_or_b64 exec, exec, s[6:7]
	s_mov_b32 s0, 0xcccccccd
	v_mul_hi_u32 v0, v9, s0
	s_waitcnt vmcnt(7)
	v_add_f32_e32 v13, v28, v30
	v_add_f32_e32 v4, v16, v28
	v_fmac_f32_e32 v16, -0.5, v13
	v_lshrrev_b32_e32 v0, 2, v0
	v_lshl_add_u32 v0, v0, 2, v0
	v_sub_u32_e32 v0, v9, v0
	v_sub_f32_e32 v9, v29, v31
	v_mov_b32_e32 v13, v16
	s_waitcnt vmcnt(6)
	v_add_f32_e32 v38, v32, v36
	v_fmac_f32_e32 v13, 0xbf5db3d7, v9
	v_fmac_f32_e32 v16, 0x3f5db3d7, v9
	v_add_f32_e32 v9, v26, v36
	v_fmac_f32_e32 v26, -0.5, v38
	v_sub_f32_e32 v38, v37, v33
	v_add_f32_e32 v41, v27, v37
	v_add_f32_e32 v37, v33, v37
	v_fmac_f32_e32 v27, -0.5, v37
	v_sub_f32_e32 v36, v36, v32
	v_mov_b32_e32 v42, v27
	v_mov_b32_e32 v40, v26
	v_fmac_f32_e32 v42, 0x3f5db3d7, v36
	v_fmac_f32_e32 v27, 0xbf5db3d7, v36
	v_mul_u32_u24_e32 v0, 0x120, v0
	v_add_f32_e32 v4, v4, v30
	v_add_f32_e32 v9, v32, v9
	v_fmac_f32_e32 v40, 0xbf5db3d7, v38
	v_fmac_f32_e32 v26, 0x3f5db3d7, v38
	v_mul_f32_e32 v32, 0xbf5db3d7, v42
	v_add_f32_e32 v36, v4, v9
	v_mul_f32_e32 v43, 0xbf5db3d7, v27
	v_sub_f32_e32 v39, v4, v9
	v_lshlrev_b32_e32 v4, 2, v0
	v_fmac_f32_e32 v32, 0.5, v40
	v_fmac_f32_e32 v43, -0.5, v26
	v_mul_u32_u24_e32 v0, 6, v3
	v_add_u32_e32 v44, 0, v4
	s_waitcnt vmcnt(1)
	v_add_f32_e32 v9, v20, v22
	v_add_f32_e32 v37, v13, v32
	v_add_f32_e32 v38, v16, v43
	v_lshl_add_u32 v45, v0, 2, v44
	v_add_f32_e32 v0, v14, v20
	v_fmac_f32_e32 v14, -0.5, v9
	ds_write2_b64 v45, v[36:37], v[38:39] offset1:1
	v_sub_f32_e32 v36, v13, v32
	v_sub_f32_e32 v37, v16, v43
	v_sub_f32_e32 v9, v21, v23
	v_mov_b32_e32 v13, v14
	s_waitcnt vmcnt(0)
	v_add_f32_e32 v16, v34, v24
	v_fmac_f32_e32 v13, 0xbf5db3d7, v9
	v_fmac_f32_e32 v14, 0x3f5db3d7, v9
	v_add_f32_e32 v9, v34, v18
	v_fmac_f32_e32 v18, -0.5, v16
	v_sub_f32_e32 v16, v35, v25
	v_mov_b32_e32 v43, v18
	v_add_f32_e32 v32, v35, v25
	v_fmac_f32_e32 v43, 0xbf5db3d7, v16
	v_fmac_f32_e32 v18, 0x3f5db3d7, v16
	v_add_f32_e32 v16, v35, v19
	v_fmac_f32_e32 v19, -0.5, v32
	v_sub_f32_e32 v32, v34, v24
	v_mov_b32_e32 v46, v19
	v_fmac_f32_e32 v46, 0x3f5db3d7, v32
	v_fmac_f32_e32 v19, 0xbf5db3d7, v32
	v_add_f32_e32 v0, v0, v22
	v_add_f32_e32 v9, v24, v9
	v_mul_f32_e32 v24, 0xbf5db3d7, v46
	v_mul_f32_e32 v32, 0xbf5db3d7, v19
	ds_write_b64 v45, v[36:37] offset:16
	v_fmac_f32_e32 v24, 0.5, v43
	v_add_f32_e32 v34, v0, v9
	v_fmac_f32_e32 v32, -0.5, v18
	v_sub_f32_e32 v37, v0, v9
	v_mul_i32_i24_e32 v0, 6, v10
	v_add_f32_e32 v9, v29, v31
	v_add_f32_e32 v35, v13, v24
	;; [unrolled: 1-line block ×3, first 2 shown]
	v_lshl_add_u32 v47, v0, 2, v44
	v_add_f32_e32 v0, v17, v29
	v_fmac_f32_e32 v17, -0.5, v9
	ds_write2_b64 v47, v[34:35], v[36:37] offset1:1
	v_sub_f32_e32 v28, v28, v30
	v_mul_f32_e32 v34, -0.5, v27
	v_mov_b32_e32 v35, v17
	v_mul_f32_e32 v48, 0x3f5db3d7, v40
	v_add_f32_e32 v0, v0, v31
	v_add_f32_e32 v29, v33, v41
	v_fmac_f32_e32 v34, 0x3f5db3d7, v26
	v_sub_f32_e32 v13, v13, v24
	v_sub_f32_e32 v14, v14, v32
	v_fmac_f32_e32 v35, 0x3f5db3d7, v28
	v_fmac_f32_e32 v17, 0xbf5db3d7, v28
	v_fmac_f32_e32 v48, 0.5, v42
	s_movk_i32 s0, 0xffec
	v_lshlrev_b32_e32 v9, 2, v3
	ds_write_b64 v47, v[13:14] offset:16
	v_add_f32_e32 v13, v0, v29
	v_add_f32_e32 v14, v35, v48
	v_sub_f32_e32 v33, v0, v29
	v_add_f32_e32 v32, v17, v34
	v_add_u32_e32 v0, v44, v9
	v_mad_i32_i24 v28, v3, s0, v45
	s_load_dwordx2 s[4:5], s[4:5], 0x0
	s_waitcnt lgkmcnt(0)
	s_barrier
	v_lshl_add_u32 v24, v7, 2, v44
	v_lshl_add_u32 v26, v8, 2, v44
	;; [unrolled: 1-line block ×4, first 2 shown]
	v_add_u32_e32 v31, 0x200, v28
	v_mad_i32_i24 v30, v10, s0, v47
	ds_read_b32 v49, v0
	ds_read_b32 v50, v24
	;; [unrolled: 1-line block ×6, first 2 shown]
	ds_read2_b32 v[36:37], v28 offset0:144 offset1:168
	ds_read2_b32 v[38:39], v28 offset0:192 offset1:216
	ds_read2_b32 v[40:41], v31 offset0:112 offset1:136
	s_waitcnt lgkmcnt(0)
	s_barrier
	ds_write2_b64 v45, v[13:14], v[32:33] offset1:1
	v_sub_f32_e32 v14, v17, v34
	v_sub_f32_e32 v13, v35, v48
	ds_write_b64 v45, v[13:14] offset:16
	v_add_f32_e32 v14, v21, v23
	v_add_f32_e32 v13, v15, v21
	v_mul_f32_e32 v19, -0.5, v19
	v_fmac_f32_e32 v15, -0.5, v14
	v_sub_f32_e32 v17, v20, v22
	v_fmac_f32_e32 v19, 0x3f5db3d7, v18
	v_mov_b32_e32 v18, v15
	v_mul_f32_e32 v21, 0x3f5db3d7, v43
	v_add_f32_e32 v20, v13, v23
	v_add_f32_e32 v16, v25, v16
	v_fmac_f32_e32 v18, 0x3f5db3d7, v17
	v_fmac_f32_e32 v15, 0xbf5db3d7, v17
	v_fmac_f32_e32 v21, 0.5, v46
	v_add_f32_e32 v13, v20, v16
	v_add_f32_e32 v14, v18, v21
	v_sub_f32_e32 v17, v20, v16
	v_add_f32_e32 v16, v15, v19
	ds_write2_b64 v47, v[13:14], v[16:17] offset1:1
	v_sub_f32_e32 v14, v15, v19
	v_sub_f32_e32 v13, v18, v21
	s_movk_i32 s0, 0xab
	ds_write_b64 v47, v[13:14] offset:16
	v_mul_lo_u16_sdwa v13, v3, s0 dst_sel:DWORD dst_unused:UNUSED_PAD src0_sel:BYTE_0 src1_sel:DWORD
	v_lshrrev_b16_e32 v23, 10, v13
	v_mul_lo_u16_e32 v13, 6, v23
	v_mul_lo_u16_sdwa v18, v10, s0 dst_sel:DWORD dst_unused:UNUSED_PAD src0_sel:BYTE_0 src1_sel:DWORD
	v_sub_u16_e32 v25, v3, v13
	v_mov_b32_e32 v17, 5
	v_lshrrev_b16_e32 v47, 10, v18
	v_mul_u32_u24_sdwa v13, v25, v17 dst_sel:DWORD dst_unused:UNUSED_PAD src0_sel:BYTE_0 src1_sel:DWORD
	v_mul_lo_u16_e32 v18, 6, v47
	v_lshlrev_b32_e32 v46, 3, v13
	v_sub_u16_e32 v48, v10, v18
	s_waitcnt lgkmcnt(0)
	s_barrier
	global_load_dwordx4 v[13:16], v46, s[12:13] offset:16
	v_mul_u32_u24_sdwa v17, v48, v17 dst_sel:DWORD dst_unused:UNUSED_PAD src0_sel:BYTE_0 src1_sel:DWORD
	v_lshlrev_b32_e32 v55, 3, v17
	global_load_dwordx4 v[17:20], v55, s[12:13] offset:16
	ds_read2_b32 v[21:22], v28 offset0:144 offset1:168
	ds_read2_b32 v[42:43], v28 offset0:192 offset1:216
	global_load_dwordx4 v[32:35], v46, s[12:13]
	global_load_dwordx2 v[44:45], v55, s[12:13] offset:32
	s_movk_i32 s6, 0x90
	v_mad_u32_u24 v23, v23, s6, 0
	v_cmp_gt_u32_e64 s[0:1], 12, v3
	s_waitcnt vmcnt(3) lgkmcnt(1)
	v_mul_f32_e32 v56, v21, v14
	v_mul_f32_e32 v14, v36, v14
	v_fmac_f32_e32 v56, v36, v13
	v_fma_f32 v21, v21, v13, -v14
	s_waitcnt lgkmcnt(0)
	v_mul_f32_e32 v36, v42, v16
	v_mul_f32_e32 v13, v38, v16
	v_fmac_f32_e32 v36, v38, v15
	v_fma_f32 v38, v42, v15, -v13
	s_waitcnt vmcnt(2)
	v_mul_f32_e32 v13, v37, v18
	v_mul_f32_e32 v42, v22, v18
	v_fma_f32 v22, v22, v17, -v13
	global_load_dwordx4 v[13:16], v55, s[12:13]
	v_fmac_f32_e32 v42, v37, v17
	global_load_dwordx2 v[17:18], v46, s[12:13] offset:32
	v_mul_f32_e32 v55, v43, v20
	v_mul_f32_e32 v20, v39, v20
	v_fmac_f32_e32 v55, v39, v19
	v_fma_f32 v19, v43, v19, -v20
	ds_read_b32 v20, v24
	ds_read_b32 v37, v26
	;; [unrolled: 1-line block ×5, first 2 shown]
	s_waitcnt vmcnt(3) lgkmcnt(4)
	v_mul_f32_e32 v57, v20, v33
	v_mul_f32_e32 v33, v50, v33
	v_fmac_f32_e32 v57, v50, v32
	v_fma_f32 v20, v20, v32, -v33
	s_waitcnt lgkmcnt(3)
	v_mul_f32_e32 v32, v37, v35
	v_mul_f32_e32 v33, v51, v35
	v_fmac_f32_e32 v32, v51, v34
	v_fma_f32 v33, v37, v34, -v33
	ds_read_b32 v34, v27
	s_waitcnt vmcnt(1) lgkmcnt(0)
	v_mul_f32_e32 v50, v34, v14
	v_mul_f32_e32 v14, v53, v14
	v_fmac_f32_e32 v50, v53, v13
	v_fma_f32 v51, v34, v13, -v14
	ds_read2_b32 v[13:14], v31 offset0:112 offset1:136
	v_mul_f32_e32 v53, v39, v16
	v_mul_f32_e32 v16, v54, v16
	v_fmac_f32_e32 v53, v54, v15
	v_fma_f32 v15, v39, v15, -v16
	s_waitcnt vmcnt(0) lgkmcnt(0)
	v_mul_f32_e32 v16, v13, v18
	v_mul_f32_e32 v18, v40, v18
	v_fmac_f32_e32 v16, v40, v17
	v_fma_f32 v13, v13, v17, -v18
	v_mul_f32_e32 v18, v41, v45
	v_add_f32_e32 v34, v32, v36
	v_mul_f32_e32 v17, v14, v45
	v_fma_f32 v14, v14, v44, -v18
	v_add_f32_e32 v18, v49, v32
	v_fmac_f32_e32 v49, -0.5, v34
	v_add_f32_e32 v34, v57, v56
	v_add_f32_e32 v35, v56, v16
	;; [unrolled: 1-line block ×3, first 2 shown]
	v_fmac_f32_e32 v57, -0.5, v35
	v_add_f32_e32 v35, v20, v21
	v_fmac_f32_e32 v20, -0.5, v37
	v_add_f32_e32 v34, v34, v16
	v_sub_f32_e32 v16, v56, v16
	v_mov_b32_e32 v37, 2
	v_fmac_f32_e32 v17, v41, v44
	v_lshlrev_b32_sdwa v25, v37, v25 dst_sel:DWORD dst_unused:UNUSED_PAD src0_sel:DWORD src1_sel:BYTE_0
	v_add_f32_e32 v18, v18, v36
	v_sub_f32_e32 v21, v21, v13
	v_mov_b32_e32 v41, v20
	v_fmac_f32_e32 v20, 0xbf5db3d7, v16
	v_add3_u32 v23, v23, v25, v4
	v_sub_f32_e32 v25, v33, v38
	v_mov_b32_e32 v40, v57
	v_fmac_f32_e32 v41, 0x3f5db3d7, v16
	v_add_f32_e32 v45, v18, v34
	v_fmac_f32_e32 v57, 0x3f5db3d7, v21
	v_sub_f32_e32 v16, v18, v34
	v_mul_f32_e32 v18, 0xbf5db3d7, v20
	v_mov_b32_e32 v39, v49
	v_fmac_f32_e32 v40, 0xbf5db3d7, v21
	v_mul_f32_e32 v44, 0xbf5db3d7, v41
	v_fmac_f32_e32 v49, 0x3f5db3d7, v25
	v_fmac_f32_e32 v18, -0.5, v57
	v_fmac_f32_e32 v39, 0xbf5db3d7, v25
	v_fmac_f32_e32 v44, 0.5, v40
	v_add_f32_e32 v21, v49, v18
	s_barrier
	ds_write2_b32 v23, v21, v16 offset0:12 offset1:18
	v_sub_f32_e32 v16, v39, v44
	v_sub_f32_e32 v18, v49, v18
	ds_write2_b32 v23, v16, v18 offset0:24 offset1:30
	v_add_f32_e32 v18, v53, v55
	v_add_f32_e32 v16, v52, v53
	v_fmac_f32_e32 v52, -0.5, v18
	v_add_f32_e32 v18, v50, v42
	v_add_f32_e32 v21, v42, v17
	;; [unrolled: 1-line block ×3, first 2 shown]
	v_fmac_f32_e32 v50, -0.5, v21
	v_add_f32_e32 v21, v51, v22
	v_fmac_f32_e32 v51, -0.5, v25
	v_add_f32_e32 v18, v18, v17
	v_sub_f32_e32 v17, v42, v17
	v_lshlrev_b32_sdwa v25, v37, v48 dst_sel:DWORD dst_unused:UNUSED_PAD src0_sel:DWORD src1_sel:BYTE_0
	v_mad_u32_u24 v34, v47, s6, 0
	v_sub_f32_e32 v22, v22, v14
	v_mov_b32_e32 v42, v51
	v_fmac_f32_e32 v51, 0xbf5db3d7, v17
	v_add_f32_e32 v54, v39, v44
	v_add3_u32 v25, v34, v25, v4
	v_sub_f32_e32 v34, v15, v19
	v_mov_b32_e32 v39, v50
	v_fmac_f32_e32 v42, 0x3f5db3d7, v17
	v_fmac_f32_e32 v50, 0x3f5db3d7, v22
	v_mul_f32_e32 v17, 0xbf5db3d7, v51
	v_add_f32_e32 v16, v16, v55
	v_mov_b32_e32 v37, v52
	v_fmac_f32_e32 v39, 0xbf5db3d7, v22
	v_mul_f32_e32 v44, 0xbf5db3d7, v42
	v_fmac_f32_e32 v52, 0x3f5db3d7, v34
	v_fmac_f32_e32 v17, -0.5, v50
	ds_write2_b32 v23, v45, v54 offset1:6
	v_fmac_f32_e32 v37, 0xbf5db3d7, v34
	v_fmac_f32_e32 v44, 0.5, v39
	v_add_f32_e32 v45, v16, v18
	v_sub_f32_e32 v16, v16, v18
	v_add_f32_e32 v18, v52, v17
	ds_write2_b32 v25, v18, v16 offset0:12 offset1:18
	v_sub_f32_e32 v16, v37, v44
	v_sub_f32_e32 v17, v52, v17
	ds_write2_b32 v25, v16, v17 offset0:24 offset1:30
	v_add_f32_e32 v17, v33, v38
	v_add_f32_e32 v16, v46, v33
	v_fmac_f32_e32 v46, -0.5, v17
	v_sub_f32_e32 v17, v32, v36
	v_mov_b32_e32 v22, v46
	v_fmac_f32_e32 v22, 0x3f5db3d7, v17
	v_fmac_f32_e32 v46, 0xbf5db3d7, v17
	v_mul_f32_e32 v17, -0.5, v20
	v_add_f32_e32 v16, v16, v38
	v_add_f32_e32 v13, v35, v13
	v_mul_f32_e32 v18, 0.5, v41
	v_fmac_f32_e32 v17, 0x3f5db3d7, v57
	v_add_f32_e32 v47, v37, v44
	v_fmac_f32_e32 v18, 0x3f5db3d7, v40
	v_add_f32_e32 v38, v16, v13
	v_sub_f32_e32 v13, v16, v13
	v_add_f32_e32 v16, v46, v17
	ds_write2_b32 v25, v45, v47 offset1:6
	s_waitcnt lgkmcnt(0)
	s_barrier
	ds_read_b32 v48, v0
	ds_read_b32 v49, v29
	;; [unrolled: 1-line block ×6, first 2 shown]
	ds_read2_b32 v[32:33], v28 offset0:144 offset1:168
	ds_read2_b32 v[34:35], v28 offset0:192 offset1:216
	;; [unrolled: 1-line block ×3, first 2 shown]
	s_waitcnt lgkmcnt(0)
	s_barrier
	ds_write2_b32 v23, v16, v13 offset0:12 offset1:18
	v_sub_f32_e32 v13, v22, v18
	v_sub_f32_e32 v16, v46, v17
	ds_write2_b32 v23, v13, v16 offset0:24 offset1:30
	v_add_f32_e32 v13, v43, v15
	v_add_f32_e32 v15, v15, v19
	v_fmac_f32_e32 v43, -0.5, v15
	v_sub_f32_e32 v15, v53, v55
	v_mov_b32_e32 v17, v43
	v_fmac_f32_e32 v17, 0x3f5db3d7, v15
	v_fmac_f32_e32 v43, 0xbf5db3d7, v15
	v_mul_f32_e32 v15, -0.5, v51
	v_add_f32_e32 v13, v13, v19
	v_add_f32_e32 v14, v21, v14
	v_mul_f32_e32 v16, 0.5, v42
	v_fmac_f32_e32 v15, 0x3f5db3d7, v50
	v_add_f32_e32 v40, v22, v18
	v_fmac_f32_e32 v16, 0x3f5db3d7, v39
	v_add_f32_e32 v18, v13, v14
	v_sub_f32_e32 v13, v13, v14
	v_add_f32_e32 v14, v43, v15
	ds_write2_b32 v23, v38, v40 offset1:6
	ds_write2_b32 v25, v14, v13 offset0:12 offset1:18
	v_sub_f32_e32 v13, v17, v16
	v_sub_f32_e32 v14, v43, v15
	ds_write2_b32 v25, v13, v14 offset0:24 offset1:30
	v_mul_u32_u24_e32 v13, 3, v3
	v_add_f32_e32 v19, v17, v16
	v_lshlrev_b32_e32 v23, 3, v13
	ds_write2_b32 v25, v18, v19 offset1:6
	s_waitcnt lgkmcnt(0)
	s_barrier
	global_load_dwordx4 v[15:18], v23, s[12:13] offset:240
	global_load_dwordx2 v[42:43], v23, s[12:13] offset:256
	v_add_u32_e32 v13, -12, v3
	v_cndmask_b32_e64 v25, v13, v10, s[0:1]
	v_mul_i32_i24_e32 v13, 3, v25
	v_mov_b32_e32 v14, 0
	v_lshlrev_b64 v[19:20], 3, v[13:14]
	v_mov_b32_e32 v21, s13
	v_add_co_u32_e64 v40, s[0:1], s12, v19
	v_addc_co_u32_e64 v41, s[0:1], v21, v20, s[0:1]
	global_load_dwordx4 v[19:22], v[40:41], off offset:240
	ds_read_b32 v13, v27
	ds_read_b32 v50, v29
	ds_read_b32 v51, v30
	ds_read2_b32 v[38:39], v28 offset0:144 offset1:168
	v_cmp_lt_u32_e64 s[0:1], 11, v3
	v_lshlrev_b32_e32 v25, 2, v25
	s_waitcnt vmcnt(2) lgkmcnt(3)
	v_mul_f32_e32 v53, v13, v16
	v_mul_f32_e32 v16, v44, v16
	v_fmac_f32_e32 v53, v44, v15
	v_fma_f32 v13, v13, v15, -v16
	s_waitcnt lgkmcnt(0)
	v_mul_f32_e32 v55, v38, v18
	v_mul_f32_e32 v15, v32, v18
	v_fmac_f32_e32 v55, v32, v17
	v_fma_f32 v32, v38, v17, -v15
	global_load_dwordx4 v[15:18], v23, s[12:13] offset:528
	global_load_dwordx2 v[44:45], v[40:41], off offset:256
	global_load_dwordx2 v[46:47], v23, s[12:13] offset:544
	ds_read_b32 v38, v26
	ds_read_b32 v40, v24
	s_waitcnt vmcnt(3)
	v_mul_f32_e32 v23, v39, v22
	v_mul_f32_e32 v22, v33, v22
	v_fmac_f32_e32 v23, v33, v21
	v_fma_f32 v39, v39, v21, -v22
	s_waitcnt lgkmcnt(1)
	v_mul_f32_e32 v21, v38, v20
	v_mul_f32_e32 v20, v54, v20
	v_fmac_f32_e32 v21, v54, v19
	v_fma_f32 v38, v38, v19, -v20
	ds_read2_b32 v[19:20], v28 offset0:192 offset1:216
	v_sub_f32_e32 v23, v52, v23
	s_waitcnt vmcnt(2)
	v_mul_f32_e32 v22, v50, v16
	v_mul_f32_e32 v16, v49, v16
	v_fmac_f32_e32 v22, v49, v15
	v_fma_f32 v41, v50, v15, -v16
	s_waitcnt lgkmcnt(0)
	v_mul_f32_e32 v33, v19, v18
	v_mul_f32_e32 v15, v34, v18
	v_fmac_f32_e32 v33, v34, v17
	v_fma_f32 v34, v19, v17, -v15
	ds_read2_b32 v[15:16], v31 offset0:112 offset1:136
	v_mul_f32_e32 v17, v20, v43
	v_mul_f32_e32 v18, v35, v43
	ds_read_b32 v43, v0
	v_fmac_f32_e32 v17, v35, v42
	v_fma_f32 v18, v20, v42, -v18
	s_waitcnt vmcnt(1)
	v_mul_f32_e32 v20, v36, v45
	s_waitcnt vmcnt(0)
	v_mul_f32_e32 v35, v37, v47
	s_waitcnt lgkmcnt(1)
	v_mul_f32_e32 v19, v15, v45
	v_fma_f32 v15, v15, v44, -v20
	v_mul_f32_e32 v20, v16, v47
	v_fma_f32 v16, v16, v46, -v35
	v_sub_f32_e32 v35, v48, v55
	v_sub_f32_e32 v17, v53, v17
	v_fmac_f32_e32 v19, v36, v44
	v_fmac_f32_e32 v20, v37, v46
	v_fma_f32 v36, v48, 2.0, -v35
	v_sub_f32_e32 v18, v13, v18
	v_fma_f32 v37, v53, 2.0, -v17
	v_sub_f32_e32 v37, v36, v37
	v_add_f32_e32 v42, v35, v18
	v_fma_f32 v36, v36, 2.0, -v37
	v_fma_f32 v35, v35, 2.0, -v42
	s_waitcnt lgkmcnt(0)
	s_barrier
	ds_write2_b32 v28, v36, v35 offset1:36
	ds_write2_b32 v28, v37, v42 offset0:72 offset1:108
	v_mov_b32_e32 v35, 0x240
	v_cndmask_b32_e64 v35, 0, v35, s[0:1]
	v_add_u32_e32 v35, 0, v35
	v_sub_f32_e32 v36, v21, v19
	v_add3_u32 v35, v35, v25, v4
	v_fma_f32 v25, v52, 2.0, -v23
	v_sub_f32_e32 v37, v38, v15
	v_fma_f32 v15, v21, 2.0, -v36
	v_sub_f32_e32 v15, v25, v15
	v_add_f32_e32 v21, v23, v37
	v_fma_f32 v19, v25, 2.0, -v15
	v_fma_f32 v23, v23, 2.0, -v21
	v_add3_u32 v4, 0, v9, v4
	v_sub_f32_e32 v9, v56, v33
	v_sub_f32_e32 v42, v22, v20
	ds_write2_b32 v35, v19, v23 offset1:36
	ds_write2_b32 v35, v15, v21 offset0:72 offset1:108
	v_fma_f32 v15, v56, 2.0, -v9
	v_sub_f32_e32 v44, v41, v16
	v_fma_f32 v16, v22, 2.0, -v42
	v_sub_f32_e32 v16, v15, v16
	v_add_f32_e32 v19, v9, v44
	v_fma_f32 v15, v15, 2.0, -v16
	v_fma_f32 v9, v9, 2.0, -v19
	ds_write2_b32 v4, v15, v9 offset0:156 offset1:192
	v_add_u32_e32 v9, 0x200, v4
	v_sub_f32_e32 v15, v43, v32
	ds_write2_b32 v9, v16, v19 offset0:100 offset1:136
	v_fma_f32 v13, v13, 2.0, -v18
	v_fma_f32 v16, v43, 2.0, -v15
	v_sub_f32_e32 v13, v16, v13
	v_sub_f32_e32 v45, v15, v17
	v_fma_f32 v43, v16, 2.0, -v13
	v_fma_f32 v46, v15, 2.0, -v45
	s_waitcnt lgkmcnt(0)
	s_barrier
	ds_read_b32 v21, v0
	ds_read_b32 v23, v24
	;; [unrolled: 1-line block ×6, first 2 shown]
	ds_read2_b32 v[15:16], v28 offset0:144 offset1:168
	ds_read2_b32 v[17:18], v28 offset0:192 offset1:216
	;; [unrolled: 1-line block ×3, first 2 shown]
	s_waitcnt lgkmcnt(0)
	s_barrier
	ds_write2_b32 v28, v43, v46 offset1:36
	ds_write2_b32 v28, v13, v45 offset0:72 offset1:108
	v_fma_f32 v13, v38, 2.0, -v37
	v_sub_f32_e32 v37, v51, v39
	v_fma_f32 v38, v51, 2.0, -v37
	v_sub_f32_e32 v13, v38, v13
	v_sub_f32_e32 v36, v37, v36
	v_fma_f32 v38, v38, 2.0, -v13
	v_fma_f32 v37, v37, 2.0, -v36
	v_sub_f32_e32 v34, v40, v34
	ds_write2_b32 v35, v38, v37 offset1:36
	ds_write2_b32 v35, v13, v36 offset0:72 offset1:108
	v_fma_f32 v13, v41, 2.0, -v44
	v_fma_f32 v35, v40, 2.0, -v34
	v_sub_f32_e32 v13, v35, v13
	v_sub_f32_e32 v36, v34, v42
	v_fma_f32 v35, v35, 2.0, -v13
	v_fma_f32 v34, v34, 2.0, -v36
	s_movk_i32 s0, 0x120
	ds_write2_b32 v4, v35, v34 offset0:156 offset1:192
	ds_write2_b32 v9, v13, v36 offset0:100 offset1:136
	s_waitcnt lgkmcnt(0)
	s_barrier
	s_and_saveexec_b64 s[8:9], vcc
	s_cbranch_execz .LBB0_14
; %bb.13:
	v_mov_b32_e32 v13, v14
	v_lshlrev_b64 v[12:13], 3, v[12:13]
	v_mov_b32_e32 v9, v14
	v_mov_b32_e32 v42, s13
	v_add_co_u32_e32 v34, vcc, s12, v12
	v_lshlrev_b64 v[8:9], 3, v[8:9]
	v_addc_co_u32_e32 v35, vcc, v42, v13, vcc
	v_mov_b32_e32 v12, v14
	v_add_co_u32_e32 v8, vcc, s12, v8
	v_lshlrev_b64 v[11:12], 3, v[11:12]
	v_addc_co_u32_e32 v9, vcc, v42, v9, vcc
	v_add_co_u32_e32 v11, vcc, s12, v11
	v_addc_co_u32_e32 v12, vcc, v42, v12, vcc
	global_load_dwordx2 v[36:37], v[34:35], off offset:1104
	global_load_dwordx2 v[38:39], v[8:9], off offset:1104
	;; [unrolled: 1-line block ×3, first 2 shown]
	v_mov_b32_e32 v8, v14
	v_lshlrev_b64 v[7:8], 3, v[7:8]
	v_mov_b32_e32 v11, v14
	v_add_co_u32_e32 v7, vcc, s12, v7
	v_lshlrev_b64 v[9:10], 3, v[10:11]
	v_addc_co_u32_e32 v8, vcc, v42, v8, vcc
	global_load_dwordx2 v[7:8], v[7:8], off offset:1104
	v_add_co_u32_e32 v9, vcc, s12, v9
	v_addc_co_u32_e32 v10, vcc, v42, v10, vcc
	global_load_dwordx2 v[9:10], v[9:10], off offset:1104
	v_mov_b32_e32 v4, v14
	v_lshlrev_b64 v[11:12], 3, v[3:4]
	v_mul_lo_u32 v6, s4, v6
	v_add_co_u32_e32 v11, vcc, s12, v11
	v_addc_co_u32_e32 v12, vcc, v42, v12, vcc
	global_load_dwordx2 v[11:12], v[11:12], off offset:1104
	v_mul_lo_u32 v42, s5, v5
	v_mad_u64_u32 v[4:5], s[4:5], s4, v5, 0
	ds_read2_b32 v[13:14], v31 offset0:112 offset1:136
	ds_read2_b32 v[34:35], v28 offset0:192 offset1:216
	ds_read_b32 v29, v29
	ds_read_b32 v43, v27
	;; [unrolled: 1-line block ×3, first 2 shown]
	ds_read2_b32 v[27:28], v28 offset0:144 offset1:168
	ds_read_b32 v26, v26
	ds_read_b32 v24, v24
	;; [unrolled: 1-line block ×3, first 2 shown]
	s_mov_b32 s1, 0x38e38e39
	v_add3_u32 v5, v5, v6, v42
	v_lshlrev_b64 v[4:5], 3, v[4:5]
	v_add_co_u32_e32 v4, vcc, s10, v4
	s_waitcnt vmcnt(5)
	v_mul_f32_e32 v6, v20, v37
	s_waitcnt lgkmcnt(8)
	v_mul_f32_e32 v30, v14, v37
	s_waitcnt vmcnt(4)
	v_mul_f32_e32 v31, v19, v39
	v_mul_f32_e32 v37, v13, v39
	s_waitcnt vmcnt(3)
	v_mul_f32_e32 v39, v18, v41
	s_waitcnt lgkmcnt(7)
	v_mul_f32_e32 v41, v35, v41
	v_fmac_f32_e32 v37, v19, v38
	v_fma_f32 v19, v35, v40, -v39
	v_fmac_f32_e32 v41, v18, v40
	s_waitcnt lgkmcnt(5)
	v_sub_f32_e32 v18, v43, v19
	v_fmac_f32_e32 v30, v20, v36
	s_waitcnt vmcnt(2)
	v_mul_f32_e32 v42, v17, v8
	v_mul_f32_e32 v8, v34, v8
	v_fmac_f32_e32 v8, v17, v7
	v_sub_f32_e32 v19, v23, v8
	v_fma_f32 v20, v34, v7, -v42
	s_waitcnt vmcnt(1)
	v_mul_f32_e32 v8, v16, v10
	s_waitcnt lgkmcnt(3)
	v_fma_f32 v8, v28, v9, -v8
	v_sub_f32_e32 v34, v44, v8
	v_mul_hi_u32 v8, v3, s1
	v_fma_f32 v13, v13, v38, -v31
	v_mul_f32_e32 v10, v28, v10
	v_fma_f32 v6, v14, v36, -v6
	v_lshrrev_b32_e32 v8, 5, v8
	v_mul_lo_u32 v8, v8, s6
	s_waitcnt lgkmcnt(2)
	v_sub_f32_e32 v14, v26, v13
	v_sub_f32_e32 v13, v33, v37
	v_fmac_f32_e32 v10, v16, v9
	s_waitcnt vmcnt(0)
	v_mul_f32_e32 v9, v15, v12
	v_sub_u32_e32 v28, v3, v8
	v_fma_f32 v31, v33, 2.0, -v13
	v_sub_f32_e32 v33, v22, v10
	v_fma_f32 v10, v27, v11, -v9
	v_mad_u64_u32 v[8:9], s[4:5], s2, v28, 0
	s_waitcnt lgkmcnt(0)
	v_sub_f32_e32 v16, v0, v10
	v_fma_f32 v35, v22, 2.0, -v33
	v_fma_f32 v22, v0, 2.0, -v16
	v_mov_b32_e32 v0, v9
	v_mad_u64_u32 v[9:10], s[4:5], s3, v28, v[0:1]
	v_mov_b32_e32 v0, s11
	v_mul_f32_e32 v12, v27, v12
	v_addc_co_u32_e32 v5, vcc, v0, v5, vcc
	v_lshlrev_b64 v[0:1], 3, v[1:2]
	v_fmac_f32_e32 v12, v15, v11
	v_sub_f32_e32 v15, v21, v12
	v_add_co_u32_e32 v12, vcc, v4, v0
	v_addc_co_u32_e32 v27, vcc, v5, v1, vcc
	v_lshlrev_b64 v[0:1], 3, v[8:9]
	v_add_u32_e32 v8, 24, v3
	v_mul_hi_u32 v2, v8, s1
	v_add_u32_e32 v10, 0x90, v28
	v_mad_u64_u32 v[4:5], s[4:5], s2, v10, 0
	v_lshrrev_b32_e32 v9, 5, v2
	v_mul_lo_u32 v11, v9, s6
	v_sub_f32_e32 v7, v29, v6
	v_sub_f32_e32 v6, v32, v30
	v_mov_b32_e32 v2, v5
	v_sub_u32_e32 v5, v8, v11
	v_mad_u64_u32 v[8:9], s[4:5], v9, s0, v[5:6]
	v_mad_u64_u32 v[9:10], s[4:5], s3, v10, v[2:3]
	;; [unrolled: 1-line block ×3, first 2 shown]
	v_add_co_u32_e32 v0, vcc, v12, v0
	v_fma_f32 v21, v21, 2.0, -v15
	v_addc_co_u32_e32 v1, vcc, v27, v1, vcc
	v_mov_b32_e32 v5, v9
	v_mov_b32_e32 v2, v11
	global_store_dwordx2 v[0:1], v[21:22], off
	v_lshlrev_b64 v[0:1], 3, v[4:5]
	v_mad_u64_u32 v[4:5], s[4:5], s3, v8, v[2:3]
	v_add_u32_e32 v9, 48, v3
	v_mul_hi_u32 v2, v9, s1
	v_add_co_u32_e32 v0, vcc, v12, v0
	v_addc_co_u32_e32 v1, vcc, v27, v1, vcc
	v_mov_b32_e32 v11, v4
	global_store_dwordx2 v[0:1], v[15:16], off
	v_lshlrev_b64 v[0:1], 3, v[10:11]
	v_add_u32_e32 v10, 0x90, v8
	v_lshrrev_b32_e32 v8, 5, v2
	v_mad_u64_u32 v[4:5], s[4:5], s2, v10, 0
	v_mul_lo_u32 v11, v8, s6
	v_add_co_u32_e32 v0, vcc, v12, v0
	v_mov_b32_e32 v2, v5
	v_sub_u32_e32 v5, v9, v11
	v_mad_u64_u32 v[8:9], s[4:5], v8, s0, v[5:6]
	v_mad_u64_u32 v[9:10], s[4:5], s3, v10, v[2:3]
	v_mad_u64_u32 v[10:11], s[4:5], s2, v8, 0
	v_fma_f32 v36, v44, 2.0, -v34
	v_addc_co_u32_e32 v1, vcc, v27, v1, vcc
	v_mov_b32_e32 v5, v9
	v_mov_b32_e32 v2, v11
	global_store_dwordx2 v[0:1], v[35:36], off
	v_lshlrev_b64 v[0:1], 3, v[4:5]
	v_mad_u64_u32 v[4:5], s[4:5], s3, v8, v[2:3]
	v_add_u32_e32 v9, 0x48, v3
	v_mul_hi_u32 v2, v9, s1
	v_add_co_u32_e32 v0, vcc, v12, v0
	v_addc_co_u32_e32 v1, vcc, v27, v1, vcc
	v_mov_b32_e32 v11, v4
	global_store_dwordx2 v[0:1], v[33:34], off
	v_lshlrev_b64 v[0:1], 3, v[10:11]
	v_add_u32_e32 v10, 0x90, v8
	v_lshrrev_b32_e32 v8, 5, v2
	v_mad_u64_u32 v[4:5], s[4:5], s2, v10, 0
	v_mul_lo_u32 v11, v8, s6
	v_sub_f32_e32 v20, v24, v20
	v_mov_b32_e32 v2, v5
	v_add_co_u32_e32 v0, vcc, v12, v0
	v_sub_u32_e32 v5, v9, v11
	v_mad_u64_u32 v[8:9], s[4:5], v8, s0, v[5:6]
	v_mad_u64_u32 v[9:10], s[4:5], s3, v10, v[2:3]
	;; [unrolled: 1-line block ×3, first 2 shown]
	v_fma_f32 v24, v24, 2.0, -v20
	v_fma_f32 v23, v23, 2.0, -v19
	v_addc_co_u32_e32 v1, vcc, v27, v1, vcc
	v_mov_b32_e32 v5, v9
	v_mov_b32_e32 v2, v11
	global_store_dwordx2 v[0:1], v[23:24], off
	v_lshlrev_b64 v[0:1], 3, v[4:5]
	v_mad_u64_u32 v[4:5], s[4:5], s3, v8, v[2:3]
	v_add_u32_e32 v9, 0x60, v3
	v_mul_hi_u32 v2, v9, s1
	v_add_co_u32_e32 v0, vcc, v12, v0
	v_addc_co_u32_e32 v1, vcc, v27, v1, vcc
	v_mov_b32_e32 v11, v4
	global_store_dwordx2 v[0:1], v[19:20], off
	v_lshlrev_b64 v[0:1], 3, v[10:11]
	v_add_u32_e32 v10, 0x90, v8
	v_lshrrev_b32_e32 v8, 5, v2
	v_mad_u64_u32 v[4:5], s[4:5], s2, v10, 0
	v_mul_lo_u32 v11, v8, s6
	v_sub_f32_e32 v17, v25, v41
	v_mov_b32_e32 v2, v5
	v_add_co_u32_e32 v0, vcc, v12, v0
	v_sub_u32_e32 v5, v9, v11
	v_mad_u64_u32 v[8:9], s[4:5], v8, s0, v[5:6]
	v_mad_u64_u32 v[9:10], s[4:5], s3, v10, v[2:3]
	;; [unrolled: 1-line block ×3, first 2 shown]
	v_fma_f32 v30, v29, 2.0, -v7
	v_fma_f32 v29, v32, 2.0, -v6
	;; [unrolled: 1-line block ×5, first 2 shown]
	v_addc_co_u32_e32 v1, vcc, v27, v1, vcc
	v_mov_b32_e32 v5, v9
	v_mov_b32_e32 v2, v11
	global_store_dwordx2 v[0:1], v[25:26], off
	v_lshlrev_b64 v[0:1], 3, v[4:5]
	v_mad_u64_u32 v[4:5], s[4:5], s3, v8, v[2:3]
	v_add_u32_e32 v5, 0x78, v3
	v_add_co_u32_e32 v0, vcc, v12, v0
	v_mov_b32_e32 v11, v4
	v_add_u32_e32 v4, 0x90, v8
	v_mul_hi_u32 v8, v5, s1
	v_addc_co_u32_e32 v1, vcc, v27, v1, vcc
	global_store_dwordx2 v[0:1], v[17:18], off
	v_lshlrev_b64 v[0:1], 3, v[10:11]
	v_mad_u64_u32 v[2:3], s[4:5], s2, v4, 0
	v_lshrrev_b32_e32 v8, 5, v8
	v_add_co_u32_e32 v0, vcc, v12, v0
	v_mul_lo_u32 v9, v8, s6
	v_addc_co_u32_e32 v1, vcc, v27, v1, vcc
	global_store_dwordx2 v[0:1], v[31:32], off
	v_mov_b32_e32 v0, v3
	v_mad_u64_u32 v[0:1], s[4:5], s3, v4, v[0:1]
	v_sub_u32_e32 v1, v5, v9
	v_mad_u64_u32 v[4:5], s[0:1], v8, s0, v[1:2]
	v_mov_b32_e32 v3, v0
	v_lshlrev_b64 v[0:1], 3, v[2:3]
	v_mad_u64_u32 v[2:3], s[0:1], s2, v4, 0
	v_add_co_u32_e32 v0, vcc, v12, v0
	v_mad_u64_u32 v[8:9], s[0:1], s3, v4, v[3:4]
	v_add_u32_e32 v9, 0x90, v4
	v_mad_u64_u32 v[4:5], s[0:1], s2, v9, 0
	v_addc_co_u32_e32 v1, vcc, v27, v1, vcc
	v_mov_b32_e32 v3, v8
	global_store_dwordx2 v[0:1], v[13:14], off
	v_lshlrev_b64 v[0:1], 3, v[2:3]
	v_mov_b32_e32 v2, v5
	v_mad_u64_u32 v[2:3], s[0:1], s3, v9, v[2:3]
	v_add_co_u32_e32 v0, vcc, v12, v0
	v_addc_co_u32_e32 v1, vcc, v27, v1, vcc
	v_mov_b32_e32 v5, v2
	global_store_dwordx2 v[0:1], v[29:30], off
	v_lshlrev_b64 v[0:1], 3, v[4:5]
	v_add_co_u32_e32 v0, vcc, v12, v0
	v_addc_co_u32_e32 v1, vcc, v27, v1, vcc
	global_store_dwordx2 v[0:1], v[6:7], off
.LBB0_14:
	s_endpgm
	.section	.rodata,"a",@progbits
	.p2align	6, 0x0
	.amdhsa_kernel fft_rtc_back_len288_factors_6_6_4_2_wgs_120_tpt_24_halfLds_sp_op_CI_CI_sbrr_dirReg
		.amdhsa_group_segment_fixed_size 0
		.amdhsa_private_segment_fixed_size 0
		.amdhsa_kernarg_size 104
		.amdhsa_user_sgpr_count 6
		.amdhsa_user_sgpr_private_segment_buffer 1
		.amdhsa_user_sgpr_dispatch_ptr 0
		.amdhsa_user_sgpr_queue_ptr 0
		.amdhsa_user_sgpr_kernarg_segment_ptr 1
		.amdhsa_user_sgpr_dispatch_id 0
		.amdhsa_user_sgpr_flat_scratch_init 0
		.amdhsa_user_sgpr_private_segment_size 0
		.amdhsa_uses_dynamic_stack 0
		.amdhsa_system_sgpr_private_segment_wavefront_offset 0
		.amdhsa_system_sgpr_workgroup_id_x 1
		.amdhsa_system_sgpr_workgroup_id_y 0
		.amdhsa_system_sgpr_workgroup_id_z 0
		.amdhsa_system_sgpr_workgroup_info 0
		.amdhsa_system_vgpr_workitem_id 0
		.amdhsa_next_free_vgpr 62
		.amdhsa_next_free_sgpr 32
		.amdhsa_reserve_vcc 1
		.amdhsa_reserve_flat_scratch 0
		.amdhsa_float_round_mode_32 0
		.amdhsa_float_round_mode_16_64 0
		.amdhsa_float_denorm_mode_32 3
		.amdhsa_float_denorm_mode_16_64 3
		.amdhsa_dx10_clamp 1
		.amdhsa_ieee_mode 1
		.amdhsa_fp16_overflow 0
		.amdhsa_exception_fp_ieee_invalid_op 0
		.amdhsa_exception_fp_denorm_src 0
		.amdhsa_exception_fp_ieee_div_zero 0
		.amdhsa_exception_fp_ieee_overflow 0
		.amdhsa_exception_fp_ieee_underflow 0
		.amdhsa_exception_fp_ieee_inexact 0
		.amdhsa_exception_int_div_zero 0
	.end_amdhsa_kernel
	.text
.Lfunc_end0:
	.size	fft_rtc_back_len288_factors_6_6_4_2_wgs_120_tpt_24_halfLds_sp_op_CI_CI_sbrr_dirReg, .Lfunc_end0-fft_rtc_back_len288_factors_6_6_4_2_wgs_120_tpt_24_halfLds_sp_op_CI_CI_sbrr_dirReg
                                        ; -- End function
	.section	.AMDGPU.csdata,"",@progbits
; Kernel info:
; codeLenInByte = 6528
; NumSgprs: 36
; NumVgprs: 62
; ScratchSize: 0
; MemoryBound: 0
; FloatMode: 240
; IeeeMode: 1
; LDSByteSize: 0 bytes/workgroup (compile time only)
; SGPRBlocks: 4
; VGPRBlocks: 15
; NumSGPRsForWavesPerEU: 36
; NumVGPRsForWavesPerEU: 62
; Occupancy: 4
; WaveLimiterHint : 1
; COMPUTE_PGM_RSRC2:SCRATCH_EN: 0
; COMPUTE_PGM_RSRC2:USER_SGPR: 6
; COMPUTE_PGM_RSRC2:TRAP_HANDLER: 0
; COMPUTE_PGM_RSRC2:TGID_X_EN: 1
; COMPUTE_PGM_RSRC2:TGID_Y_EN: 0
; COMPUTE_PGM_RSRC2:TGID_Z_EN: 0
; COMPUTE_PGM_RSRC2:TIDIG_COMP_CNT: 0
	.type	__hip_cuid_158b9fe376e43f20,@object ; @__hip_cuid_158b9fe376e43f20
	.section	.bss,"aw",@nobits
	.globl	__hip_cuid_158b9fe376e43f20
__hip_cuid_158b9fe376e43f20:
	.byte	0                               ; 0x0
	.size	__hip_cuid_158b9fe376e43f20, 1

	.ident	"AMD clang version 19.0.0git (https://github.com/RadeonOpenCompute/llvm-project roc-6.4.0 25133 c7fe45cf4b819c5991fe208aaa96edf142730f1d)"
	.section	".note.GNU-stack","",@progbits
	.addrsig
	.addrsig_sym __hip_cuid_158b9fe376e43f20
	.amdgpu_metadata
---
amdhsa.kernels:
  - .args:
      - .actual_access:  read_only
        .address_space:  global
        .offset:         0
        .size:           8
        .value_kind:     global_buffer
      - .offset:         8
        .size:           8
        .value_kind:     by_value
      - .actual_access:  read_only
        .address_space:  global
        .offset:         16
        .size:           8
        .value_kind:     global_buffer
      - .actual_access:  read_only
        .address_space:  global
        .offset:         24
        .size:           8
        .value_kind:     global_buffer
      - .actual_access:  read_only
        .address_space:  global
        .offset:         32
        .size:           8
        .value_kind:     global_buffer
      - .offset:         40
        .size:           8
        .value_kind:     by_value
      - .actual_access:  read_only
        .address_space:  global
        .offset:         48
        .size:           8
        .value_kind:     global_buffer
      - .actual_access:  read_only
        .address_space:  global
        .offset:         56
        .size:           8
        .value_kind:     global_buffer
      - .offset:         64
        .size:           4
        .value_kind:     by_value
      - .actual_access:  read_only
        .address_space:  global
        .offset:         72
        .size:           8
        .value_kind:     global_buffer
      - .actual_access:  read_only
        .address_space:  global
        .offset:         80
        .size:           8
        .value_kind:     global_buffer
      - .actual_access:  read_only
        .address_space:  global
        .offset:         88
        .size:           8
        .value_kind:     global_buffer
      - .actual_access:  write_only
        .address_space:  global
        .offset:         96
        .size:           8
        .value_kind:     global_buffer
    .group_segment_fixed_size: 0
    .kernarg_segment_align: 8
    .kernarg_segment_size: 104
    .language:       OpenCL C
    .language_version:
      - 2
      - 0
    .max_flat_workgroup_size: 120
    .name:           fft_rtc_back_len288_factors_6_6_4_2_wgs_120_tpt_24_halfLds_sp_op_CI_CI_sbrr_dirReg
    .private_segment_fixed_size: 0
    .sgpr_count:     36
    .sgpr_spill_count: 0
    .symbol:         fft_rtc_back_len288_factors_6_6_4_2_wgs_120_tpt_24_halfLds_sp_op_CI_CI_sbrr_dirReg.kd
    .uniform_work_group_size: 1
    .uses_dynamic_stack: false
    .vgpr_count:     62
    .vgpr_spill_count: 0
    .wavefront_size: 64
amdhsa.target:   amdgcn-amd-amdhsa--gfx906
amdhsa.version:
  - 1
  - 2
...

	.end_amdgpu_metadata
